;; amdgpu-corpus repo=ROCm/rocFFT kind=compiled arch=gfx950 opt=O3
	.text
	.amdgcn_target "amdgcn-amd-amdhsa--gfx950"
	.amdhsa_code_object_version 6
	.protected	fft_rtc_fwd_len13_factors_13_wgs_64_tpt_1_sp_op_CI_CI_sbrr_dirReg ; -- Begin function fft_rtc_fwd_len13_factors_13_wgs_64_tpt_1_sp_op_CI_CI_sbrr_dirReg
	.globl	fft_rtc_fwd_len13_factors_13_wgs_64_tpt_1_sp_op_CI_CI_sbrr_dirReg
	.p2align	8
	.type	fft_rtc_fwd_len13_factors_13_wgs_64_tpt_1_sp_op_CI_CI_sbrr_dirReg,@function
fft_rtc_fwd_len13_factors_13_wgs_64_tpt_1_sp_op_CI_CI_sbrr_dirReg: ; @fft_rtc_fwd_len13_factors_13_wgs_64_tpt_1_sp_op_CI_CI_sbrr_dirReg
; %bb.0:
	s_load_dwordx4 s[8:11], s[0:1], 0x18
	s_load_dwordx2 s[16:17], s[0:1], 0x8
	s_load_dwordx4 s[4:7], s[0:1], 0x58
	v_lshl_or_b32 v6, s2, 6, v0
	v_mov_b32_e32 v0, 0
	s_waitcnt lgkmcnt(0)
	s_load_dwordx2 s[14:15], s[8:9], 0x0
	s_load_dwordx2 s[12:13], s[10:11], 0x0
	v_cmp_lt_u64_e64 s[2:3], s[16:17], 2
	v_mov_b32_e32 v7, v0
	s_and_b64 vcc, exec, s[2:3]
	v_mov_b64_e32 v[4:5], 0
	s_cbranch_vccnz .LBB0_8
; %bb.1:
	s_load_dwordx2 s[2:3], s[0:1], 0x10
	s_add_u32 s18, s10, 8
	s_addc_u32 s19, s11, 0
	s_add_u32 s20, s8, 8
	s_addc_u32 s21, s9, 0
	s_waitcnt lgkmcnt(0)
	s_add_u32 s22, s2, 8
	v_mov_b64_e32 v[4:5], 0
	s_addc_u32 s23, s3, 0
	s_mov_b64 s[24:25], 1
	v_mov_b64_e32 v[14:15], v[4:5]
.LBB0_2:                                ; =>This Inner Loop Header: Depth=1
	s_load_dwordx2 s[26:27], s[22:23], 0x0
                                        ; implicit-def: $vgpr2_vgpr3
	s_waitcnt lgkmcnt(0)
	v_or_b32_e32 v1, s27, v7
	v_cmp_ne_u64_e32 vcc, 0, v[0:1]
	s_and_saveexec_b64 s[2:3], vcc
	s_xor_b64 s[28:29], exec, s[2:3]
	s_cbranch_execz .LBB0_4
; %bb.3:                                ;   in Loop: Header=BB0_2 Depth=1
	v_cvt_f32_u32_e32 v1, s26
	v_cvt_f32_u32_e32 v2, s27
	s_sub_u32 s2, 0, s26
	s_subb_u32 s3, 0, s27
	v_fmac_f32_e32 v1, 0x4f800000, v2
	v_rcp_f32_e32 v1, v1
	s_nop 0
	v_mul_f32_e32 v1, 0x5f7ffffc, v1
	v_mul_f32_e32 v2, 0x2f800000, v1
	v_trunc_f32_e32 v2, v2
	v_fmac_f32_e32 v1, 0xcf800000, v2
	v_cvt_u32_f32_e32 v10, v2
	v_cvt_u32_f32_e32 v1, v1
	v_mul_lo_u32 v2, s2, v10
	v_mul_hi_u32 v8, s2, v1
	v_mul_lo_u32 v3, s3, v1
	v_add_u32_e32 v8, v8, v2
	v_mul_lo_u32 v11, s2, v1
	v_add_u32_e32 v12, v8, v3
	v_mul_hi_u32 v2, v1, v11
	v_mul_hi_u32 v9, v1, v12
	v_mul_lo_u32 v8, v1, v12
	v_mov_b32_e32 v3, v0
	v_lshl_add_u64 v[2:3], v[2:3], 0, v[8:9]
	v_mul_hi_u32 v9, v10, v11
	v_mul_lo_u32 v11, v10, v11
	v_add_co_u32_e32 v2, vcc, v2, v11
	v_mul_hi_u32 v8, v10, v12
	s_nop 0
	v_addc_co_u32_e32 v2, vcc, v3, v9, vcc
	v_mov_b32_e32 v3, v0
	s_nop 0
	v_addc_co_u32_e32 v9, vcc, 0, v8, vcc
	v_mul_lo_u32 v8, v10, v12
	v_lshl_add_u64 v[2:3], v[2:3], 0, v[8:9]
	v_add_co_u32_e32 v1, vcc, v1, v2
	v_mul_lo_u32 v8, s2, v1
	s_nop 0
	v_addc_co_u32_e32 v10, vcc, v10, v3, vcc
	v_mul_lo_u32 v2, s2, v10
	v_mul_hi_u32 v3, s2, v1
	v_add_u32_e32 v2, v3, v2
	v_mul_lo_u32 v3, s3, v1
	v_add_u32_e32 v11, v2, v3
	v_mul_hi_u32 v13, v10, v8
	v_mul_lo_u32 v16, v10, v8
	v_mul_hi_u32 v3, v1, v11
	v_mul_lo_u32 v2, v1, v11
	v_mul_hi_u32 v8, v1, v8
	v_mov_b32_e32 v9, v0
	v_lshl_add_u64 v[2:3], v[8:9], 0, v[2:3]
	v_add_co_u32_e32 v2, vcc, v2, v16
	v_mul_hi_u32 v12, v10, v11
	s_nop 0
	v_addc_co_u32_e32 v2, vcc, v3, v13, vcc
	v_mul_lo_u32 v8, v10, v11
	s_nop 0
	v_addc_co_u32_e32 v9, vcc, 0, v12, vcc
	v_mov_b32_e32 v3, v0
	v_lshl_add_u64 v[2:3], v[2:3], 0, v[8:9]
	v_add_co_u32_e32 v1, vcc, v1, v2
	v_mul_hi_u32 v8, v6, v1
	s_nop 0
	v_addc_co_u32_e32 v10, vcc, v10, v3, vcc
	v_mad_u64_u32 v[2:3], s[2:3], v6, v10, 0
	v_mov_b32_e32 v9, v0
	v_lshl_add_u64 v[2:3], v[8:9], 0, v[2:3]
	v_mad_u64_u32 v[8:9], s[2:3], v7, v10, 0
	v_mad_u64_u32 v[10:11], s[2:3], v7, v1, 0
	v_add_co_u32_e32 v1, vcc, v2, v10
	s_nop 1
	v_addc_co_u32_e32 v2, vcc, v3, v11, vcc
	v_mov_b32_e32 v3, v0
	s_nop 0
	v_addc_co_u32_e32 v9, vcc, 0, v9, vcc
	v_lshl_add_u64 v[2:3], v[2:3], 0, v[8:9]
	v_mul_lo_u32 v1, s27, v2
	v_mul_lo_u32 v10, s26, v3
	v_mad_u64_u32 v[8:9], s[2:3], s26, v2, 0
	v_add3_u32 v1, v9, v10, v1
	v_sub_u32_e32 v9, v7, v1
	v_mov_b32_e32 v10, s27
	v_sub_co_u32_e32 v12, vcc, v6, v8
	s_nop 1
	v_subb_co_u32_e64 v8, s[2:3], v9, v10, vcc
	v_subrev_co_u32_e64 v9, s[2:3], s26, v12
	v_subb_co_u32_e32 v1, vcc, v7, v1, vcc
	s_nop 0
	v_subbrev_co_u32_e64 v8, s[2:3], 0, v8, s[2:3]
	v_cmp_le_u32_e64 s[2:3], s27, v8
	v_cmp_le_u32_e32 vcc, s27, v1
	s_nop 0
	v_cndmask_b32_e64 v10, 0, -1, s[2:3]
	v_cmp_le_u32_e64 s[2:3], s26, v9
	s_nop 1
	v_cndmask_b32_e64 v9, 0, -1, s[2:3]
	v_cmp_eq_u32_e64 s[2:3], s27, v8
	s_nop 1
	v_cndmask_b32_e64 v13, v10, v9, s[2:3]
	v_lshl_add_u64 v[8:9], v[2:3], 0, 2
	v_lshl_add_u64 v[10:11], v[2:3], 0, 1
	v_cmp_ne_u32_e64 s[2:3], 0, v13
	s_nop 1
	v_cndmask_b32_e64 v9, v11, v9, s[2:3]
	v_cndmask_b32_e64 v11, 0, -1, vcc
	v_cmp_le_u32_e32 vcc, s26, v12
	s_nop 1
	v_cndmask_b32_e64 v12, 0, -1, vcc
	v_cmp_eq_u32_e32 vcc, s27, v1
	s_nop 1
	v_cndmask_b32_e32 v1, v11, v12, vcc
	v_cmp_ne_u32_e32 vcc, 0, v1
	v_cndmask_b32_e64 v1, v10, v8, s[2:3]
	s_nop 0
	v_cndmask_b32_e32 v3, v3, v9, vcc
	v_cndmask_b32_e32 v2, v2, v1, vcc
.LBB0_4:                                ;   in Loop: Header=BB0_2 Depth=1
	s_andn2_saveexec_b64 s[2:3], s[28:29]
	s_cbranch_execz .LBB0_6
; %bb.5:                                ;   in Loop: Header=BB0_2 Depth=1
	v_cvt_f32_u32_e32 v1, s26
	s_sub_i32 s28, 0, s26
	v_rcp_iflag_f32_e32 v1, v1
	s_nop 0
	v_mul_f32_e32 v1, 0x4f7ffffe, v1
	v_cvt_u32_f32_e32 v1, v1
	v_mul_lo_u32 v2, s28, v1
	v_mul_hi_u32 v2, v1, v2
	v_add_u32_e32 v1, v1, v2
	v_mul_hi_u32 v1, v6, v1
	v_mul_lo_u32 v2, v1, s26
	v_sub_u32_e32 v2, v6, v2
	v_add_u32_e32 v3, 1, v1
	v_subrev_u32_e32 v8, s26, v2
	v_cmp_le_u32_e32 vcc, s26, v2
	s_nop 1
	v_cndmask_b32_e32 v2, v2, v8, vcc
	v_cndmask_b32_e32 v1, v1, v3, vcc
	v_add_u32_e32 v3, 1, v1
	v_cmp_le_u32_e32 vcc, s26, v2
	s_nop 1
	v_cndmask_b32_e32 v2, v1, v3, vcc
	v_mov_b32_e32 v3, v0
.LBB0_6:                                ;   in Loop: Header=BB0_2 Depth=1
	s_or_b64 exec, exec, s[2:3]
	v_mad_u64_u32 v[8:9], s[2:3], v2, s26, 0
	s_load_dwordx2 s[2:3], s[20:21], 0x0
	v_mul_lo_u32 v1, v3, s26
	v_mul_lo_u32 v10, v2, s27
	s_load_dwordx2 s[26:27], s[18:19], 0x0
	s_add_u32 s24, s24, 1
	v_add3_u32 v1, v9, v10, v1
	v_sub_co_u32_e32 v6, vcc, v6, v8
	s_addc_u32 s25, s25, 0
	s_nop 0
	v_subb_co_u32_e32 v1, vcc, v7, v1, vcc
	s_add_u32 s18, s18, 8
	s_waitcnt lgkmcnt(0)
	v_mul_lo_u32 v7, s2, v1
	v_mul_lo_u32 v8, s3, v6
	v_mad_u64_u32 v[4:5], s[2:3], s2, v6, v[4:5]
	s_addc_u32 s19, s19, 0
	v_add3_u32 v5, v8, v5, v7
	v_mul_lo_u32 v1, s26, v1
	v_mul_lo_u32 v7, s27, v6
	v_mad_u64_u32 v[14:15], s[2:3], s26, v6, v[14:15]
	s_add_u32 s20, s20, 8
	v_add3_u32 v15, v7, v15, v1
	s_addc_u32 s21, s21, 0
	v_mov_b64_e32 v[6:7], s[16:17]
	s_add_u32 s22, s22, 8
	v_cmp_ge_u64_e32 vcc, s[24:25], v[6:7]
	s_addc_u32 s23, s23, 0
	s_cbranch_vccnz .LBB0_9
; %bb.7:                                ;   in Loop: Header=BB0_2 Depth=1
	v_mov_b64_e32 v[6:7], v[2:3]
	s_branch .LBB0_2
.LBB0_8:
	v_mov_b64_e32 v[14:15], v[4:5]
	v_mov_b64_e32 v[2:3], v[6:7]
.LBB0_9:
	s_load_dwordx2 s[2:3], s[0:1], 0x28
	s_lshl_b64 s[16:17], s[16:17], 3
	s_add_u32 s0, s10, s16
	s_addc_u32 s1, s11, s17
	v_mov_b64_e32 v[0:1], 0
	s_waitcnt lgkmcnt(0)
	v_cmp_gt_u64_e32 vcc, s[2:3], v[2:3]
                                        ; implicit-def: $vgpr38
                                        ; implicit-def: $vgpr40
                                        ; implicit-def: $vgpr42
                                        ; implicit-def: $vgpr48
                                        ; implicit-def: $vgpr44
                                        ; implicit-def: $vgpr50
                                        ; implicit-def: $vgpr52
                                        ; implicit-def: $vgpr56
                                        ; implicit-def: $vgpr54
                                        ; implicit-def: $vgpr36
                                        ; implicit-def: $vgpr58
                                        ; implicit-def: $vgpr60
	s_and_saveexec_b64 s[2:3], vcc
	s_cbranch_execnz .LBB0_12
; %bb.10:
	s_or_b64 exec, exec, s[2:3]
	s_and_saveexec_b64 s[2:3], vcc
	s_cbranch_execnz .LBB0_13
.LBB0_11:
	s_endpgm
.LBB0_12:
	s_add_u32 s8, s8, s16
	s_addc_u32 s9, s9, s17
	s_load_dwordx2 s[8:9], s[8:9], 0x0
	s_waitcnt lgkmcnt(0)
	v_mul_lo_u32 v6, s9, v2
	v_mul_lo_u32 v7, s8, v3
	v_mad_u64_u32 v[0:1], s[8:9], s8, v2, 0
	v_add3_u32 v1, v1, v7, v6
	v_lshl_add_u64 v[0:1], v[0:1], 3, s[4:5]
	v_lshl_add_u64 v[4:5], v[4:5], 3, v[0:1]
	v_mad_u64_u32 v[0:1], s[4:5], s14, 24, v[4:5]
	v_mov_b32_e32 v10, v1
	v_mad_u64_u32 v[10:11], s[4:5], s15, 24, v[10:11]
	s_lshl_b64 s[4:5], s[14:15], 5
	v_mov_b32_e32 v1, v10
	v_lshl_add_u64 v[10:11], v[4:5], 0, s[4:5]
	v_mad_u64_u32 v[12:13], s[4:5], s14, 40, v[4:5]
	global_load_dwordx2 v[36:37], v[0:1], off
	v_mov_b32_e32 v0, v13
	v_mad_u64_u32 v[0:1], s[4:5], s15, 40, v[0:1]
	v_mad_u64_u32 v[16:17], s[4:5], s14, 48, v[4:5]
	v_mov_b32_e32 v13, v0
	v_mov_b32_e32 v0, v17
	v_mad_u64_u32 v[0:1], s[4:5], s15, 48, v[0:1]
	v_mad_u64_u32 v[18:19], s[4:5], s14, 56, v[4:5]
	v_mov_b32_e32 v17, v0
	v_mov_b32_e32 v0, v19
	v_mad_u64_u32 v[0:1], s[4:5], s15, 56, v[0:1]
	v_mov_b32_e32 v19, v0
	s_lshl_b64 s[4:5], s[14:15], 6
	v_mov_b32_e32 v0, 0x48
	v_lshl_add_u64 v[20:21], v[4:5], 0, s[4:5]
	v_mad_u64_u32 v[22:23], s[4:5], s14, v0, v[4:5]
	s_mul_i32 s4, s15, 0x48
	v_mov_b32_e32 v0, 0x50
	v_add_u32_e32 v23, s4, v23
	v_mad_u64_u32 v[24:25], s[4:5], s14, v0, v[4:5]
	s_mul_i32 s4, s15, 0x50
	v_mov_b32_e32 v0, 0x58
	v_add_u32_e32 v25, s4, v25
	;; [unrolled: 4-line block ×3, first 2 shown]
	v_mad_u64_u32 v[28:29], s[4:5], s14, v0, v[4:5]
	s_mul_i32 s4, s15, 0x60
	v_lshl_add_u64 v[6:7], s[14:15], 3, v[4:5]
	v_lshl_add_u64 v[8:9], s[14:15], 4, v[4:5]
	v_add_u32_e32 v29, s4, v29
	global_load_dwordx2 v[0:1], v[4:5], off
	global_load_dwordx2 v[58:59], v[6:7], off
	;; [unrolled: 1-line block ×12, first 2 shown]
	s_or_b64 exec, exec, s[2:3]
	s_and_saveexec_b64 s[2:3], vcc
	s_cbranch_execz .LBB0_11
.LBB0_13:
	s_load_dwordx2 s[0:1], s[0:1], 0x0
	s_waitcnt vmcnt(0)
	v_pk_add_f32 v[4:5], v[58:59], v[38:39] neg_lo:[0,1] neg_hi:[0,1]
	v_pk_add_f32 v[20:21], v[58:59], v[38:39]
	v_mov_b32_e32 v11, v4
	v_mov_b32_e32 v10, v20
	s_waitcnt lgkmcnt(0)
	v_mul_lo_u32 v6, s1, v2
	v_mul_lo_u32 v3, s0, v3
	v_mad_u64_u32 v[16:17], s[0:1], s0, v2, 0
	v_add3_u32 v17, v17, v3, v6
	v_mov_b32_e32 v20, v5
	v_pk_add_f32 v[4:5], v[60:61], v[40:41] neg_lo:[0,1] neg_hi:[0,1]
	v_pk_add_f32 v[22:23], v[60:61], v[40:41]
	v_pk_add_f32 v[6:7], v[36:37], v[42:43] neg_lo:[0,1] neg_hi:[0,1]
	v_pk_add_f32 v[24:25], v[36:37], v[42:43]
	;; [unrolled: 2-line block ×5, first 2 shown]
	v_lshl_add_u64 v[16:17], v[16:17], 3, s[6:7]
	v_mov_b32_e32 v2, v22
	v_mov_b32_e32 v3, v4
	;; [unrolled: 1-line block ×15, first 2 shown]
	v_lshl_add_u64 v[18:19], v[14:15], 3, v[16:17]
	v_mad_u64_u32 v[46:47], s[0:1], s12, 24, v[18:19]
	v_mov_b32_e32 v14, v47
	v_mad_u64_u32 v[14:15], s[0:1], s13, 24, v[14:15]
	v_mad_u64_u32 v[32:33], s[0:1], s12, 40, v[18:19]
	v_mov_b32_e32 v47, v14
	v_mov_b32_e32 v14, v33
	v_mad_u64_u32 v[14:15], s[0:1], s13, 40, v[14:15]
	v_mov_b32_e32 v33, v14
	v_mad_u64_u32 v[14:15], s[0:1], s12, 48, v[18:19]
	v_mov_b32_e32 v16, v15
	v_pk_add_f32 v[58:59], v[58:59], v[0:1]
	v_mad_u64_u32 v[16:17], s[0:1], s13, 48, v[16:17]
	v_pk_add_f32 v[58:59], v[60:61], v[58:59]
	v_mov_b32_e32 v15, v16
	v_mad_u64_u32 v[16:17], s[0:1], s12, 56, v[18:19]
	v_pk_add_f32 v[36:37], v[36:37], v[58:59]
	v_mov_b32_e32 v34, v17
	v_pk_add_f32 v[36:37], v[54:55], v[36:37]
	v_mad_u64_u32 v[34:35], s[0:1], s13, 56, v[34:35]
	v_pk_add_f32 v[36:37], v[56:57], v[36:37]
	s_mov_b32 s1, 0xbeedf032
	s_mov_b32 s0, 0x3f62ad3f
	;; [unrolled: 1-line block ×3, first 2 shown]
	v_pk_add_f32 v[36:37], v[52:53], v[36:37]
	s_mov_b32 s2, s1
	s_mov_b32 s3, s0
	s_mov_b32 s7, 0xbf52af12
	v_pk_add_f32 v[36:37], v[50:51], v[36:37]
	s_mov_b32 s18, s7
	s_mov_b32 s19, s6
	v_pk_mul_f32 v[62:63], v[20:21], s[2:3]
	v_pk_add_f32 v[36:37], v[44:45], v[36:37]
	v_mov_b32_e32 v17, v34
	v_pk_fma_f32 v[64:65], v[10:11], s[0:1], v[62:63]
	v_pk_fma_f32 v[34:35], v[10:11], s[0:1], v[62:63] neg_lo:[1,0,0] neg_hi:[1,0,0]
	v_pk_mul_f32 v[66:67], v[22:23], s[18:19]
	s_mov_b32 s24, 0x3df6dbef
	v_pk_add_f32 v[36:37], v[48:49], v[36:37]
	v_mov_b32_e32 v34, v64
	v_pk_fma_f32 v[68:69], v[2:3], s[6:7], v[66:67]
	v_pk_fma_f32 v[70:71], v[2:3], s[6:7], v[66:67] neg_lo:[1,0,0] neg_hi:[1,0,0]
	s_mov_b32 s25, 0xbf7e222b
	v_pk_add_f32 v[36:37], v[42:43], v[36:37]
	v_pk_add_f32 v[34:35], v[34:35], v[0:1]
	v_mov_b32_e32 v70, v68
	s_mov_b32 s28, s25
	s_mov_b32 s29, s24
	v_pk_add_f32 v[36:37], v[40:41], v[36:37]
	v_pk_add_f32 v[34:35], v[70:71], v[34:35]
	v_pk_mul_f32 v[70:71], v[24:25], s[28:29]
	s_mov_b32 s2, 0xbeb58ec6
	v_pk_add_f32 v[36:37], v[38:39], v[36:37]
	v_pk_fma_f32 v[72:73], v[4:5], s[24:25], v[70:71]
	v_pk_fma_f32 v[74:75], v[4:5], s[24:25], v[70:71] neg_lo:[1,0,0] neg_hi:[1,0,0]
	s_mov_b32 s3, 0xbf6f5d39
	global_store_dwordx2 v[18:19], v[36:37], off
	v_pk_fma_f32 v[36:37], v[10:11], s[0:1], v[62:63] neg_lo:[0,0,1] neg_hi:[0,0,1]
	v_mov_b32_e32 v74, v72
	s_mov_b32 s10, s3
	s_mov_b32 s11, s2
	v_mov_b32_e32 v37, v65
	v_pk_fma_f32 v[38:39], v[2:3], s[6:7], v[66:67] neg_lo:[0,0,1] neg_hi:[0,0,1]
	v_pk_add_f32 v[34:35], v[74:75], v[34:35]
	v_pk_mul_f32 v[74:75], v[26:27], s[10:11]
	s_mov_b32 s4, 0xbf3f9e67
	v_mov_b32_e32 v39, v69
	v_pk_add_f32 v[36:37], v[36:37], v[0:1]
	v_pk_fma_f32 v[76:77], v[6:7], s[2:3], v[74:75]
	v_pk_fma_f32 v[78:79], v[6:7], s[2:3], v[74:75] neg_lo:[1,0,0] neg_hi:[1,0,0]
	s_mov_b32 s5, 0xbf29c268
	v_pk_add_f32 v[36:37], v[38:39], v[36:37]
	v_pk_fma_f32 v[38:39], v[4:5], s[24:25], v[70:71] neg_lo:[0,0,1] neg_hi:[0,0,1]
	v_mov_b32_e32 v78, v76
	s_mov_b32 s16, s5
	s_mov_b32 s17, s4
	v_mov_b32_e32 v39, v73
	v_pk_add_f32 v[34:35], v[78:79], v[34:35]
	v_pk_mul_f32 v[78:79], v[28:29], s[16:17]
	s_mov_b32 s8, 0xbf788fa5
	v_pk_add_f32 v[36:37], v[38:39], v[36:37]
	v_pk_fma_f32 v[38:39], v[6:7], s[2:3], v[74:75] neg_lo:[0,0,1] neg_hi:[0,0,1]
	v_pk_fma_f32 v[80:81], v[8:9], s[4:5], v[78:79]
	v_pk_fma_f32 v[82:83], v[8:9], s[4:5], v[78:79] neg_lo:[1,0,0] neg_hi:[1,0,0]
	s_mov_b32 s9, 0xbe750f2a
	v_mov_b32_e32 v39, v77
	v_mov_b32_e32 v82, v80
	s_mov_b32 s20, s9
	s_mov_b32 s21, s8
	v_pk_add_f32 v[36:37], v[38:39], v[36:37]
	v_pk_fma_f32 v[38:39], v[8:9], s[4:5], v[78:79] neg_lo:[0,0,1] neg_hi:[0,0,1]
	v_pk_add_f32 v[34:35], v[82:83], v[34:35]
	v_pk_mul_f32 v[82:83], v[30:31], s[20:21]
	v_mov_b32_e32 v39, v81
	v_pk_fma_f32 v[84:85], v[12:13], s[8:9], v[82:83]
	v_pk_add_f32 v[36:37], v[38:39], v[36:37]
	v_pk_fma_f32 v[38:39], v[12:13], s[8:9], v[82:83] neg_lo:[0,0,1] neg_hi:[0,0,1]
	v_lshl_add_u64 v[40:41], s[12:13], 3, v[18:19]
	v_mov_b32_e32 v39, v85
	v_pk_add_f32 v[36:37], v[38:39], v[36:37]
	v_pk_mul_f32 v[38:39], v[20:21], s[18:19]
	global_store_dwordx2 v[40:41], v[36:37], off
	v_pk_mul_f32 v[40:41], v[22:23], s[10:11]
	v_pk_fma_f32 v[50:51], v[10:11], s[6:7], v[38:39]
	v_pk_fma_f32 v[36:37], v[10:11], s[6:7], v[38:39] neg_lo:[1,0,0] neg_hi:[1,0,0]
	v_pk_mul_f32 v[42:43], v[24:25], s[20:21]
	s_mov_b32 s31, 0x3f29c268
	v_mov_b32_e32 v36, v50
	v_pk_fma_f32 v[52:53], v[2:3], s[2:3], v[40:41]
	v_pk_fma_f32 v[54:55], v[2:3], s[2:3], v[40:41] neg_lo:[1,0,0] neg_hi:[1,0,0]
	s_mov_b32 s34, s31
	s_mov_b32 s35, s4
	v_mov_b32_e32 v54, v52
	v_pk_fma_f32 v[56:57], v[4:5], s[8:9], v[42:43]
	v_pk_fma_f32 v[58:59], v[4:5], s[8:9], v[42:43] neg_lo:[1,0,0] neg_hi:[1,0,0]
	v_pk_add_f32 v[36:37], v[36:37], v[0:1]
	s_mov_b32 s30, s4
	v_pk_mul_f32 v[44:45], v[26:27], s[34:35]
	s_mov_b32 s15, 0x3f7e222b
	v_mov_b32_e32 v58, v56
	v_pk_add_f32 v[36:37], v[54:55], v[36:37]
	s_mov_b32 s22, s15
	s_mov_b32 s23, s24
	v_pk_fma_f32 v[54:55], v[6:7], s[30:31], v[44:45]
	v_pk_add_f32 v[36:37], v[58:59], v[36:37]
	v_pk_fma_f32 v[58:59], v[6:7], s[30:31], v[44:45] neg_lo:[1,0,0] neg_hi:[1,0,0]
	v_pk_fma_f32 v[38:39], v[10:11], s[6:7], v[38:39] neg_lo:[0,0,1] neg_hi:[0,0,1]
	s_mov_b32 s14, s24
	v_pk_mul_f32 v[48:49], v[28:29], s[22:23]
	v_mov_b32_e32 v58, v54
	v_mov_b32_e32 v39, v51
	v_pk_fma_f32 v[40:41], v[2:3], s[2:3], v[40:41] neg_lo:[0,0,1] neg_hi:[0,0,1]
	v_pk_add_f32 v[36:37], v[58:59], v[36:37]
	v_pk_fma_f32 v[58:59], v[8:9], s[14:15], v[48:49]
	v_pk_fma_f32 v[60:61], v[8:9], s[14:15], v[48:49] neg_lo:[1,0,0] neg_hi:[1,0,0]
	s_mov_b32 s1, 0x3eedf032
	v_mov_b32_e32 v41, v53
	v_pk_fma_f32 v[42:43], v[4:5], s[8:9], v[42:43] neg_lo:[0,0,1] neg_hi:[0,0,1]
	v_pk_add_f32 v[38:39], v[38:39], v[0:1]
	v_mov_b32_e32 v60, v58
	s_mov_b32 s26, s1
	s_mov_b32 s27, s0
	v_mov_b32_e32 v43, v57
	v_pk_fma_f32 v[44:45], v[6:7], s[30:31], v[44:45] neg_lo:[0,0,1] neg_hi:[0,0,1]
	v_pk_add_f32 v[38:39], v[40:41], v[38:39]
	v_pk_add_f32 v[36:37], v[60:61], v[36:37]
	v_pk_mul_f32 v[60:61], v[30:31], s[26:27]
	v_mov_b32_e32 v45, v55
	v_pk_fma_f32 v[48:49], v[8:9], s[14:15], v[48:49] neg_lo:[0,0,1] neg_hi:[0,0,1]
	v_pk_add_f32 v[38:39], v[42:43], v[38:39]
	v_pk_fma_f32 v[62:63], v[12:13], s[0:1], v[60:61]
	v_mov_b32_e32 v49, v59
	v_pk_fma_f32 v[52:53], v[12:13], s[0:1], v[60:61] neg_lo:[0,0,1] neg_hi:[0,0,1]
	v_pk_add_f32 v[38:39], v[44:45], v[38:39]
	v_mov_b32_e32 v53, v63
	v_pk_add_f32 v[38:39], v[48:49], v[38:39]
	v_lshl_add_u64 v[50:51], s[12:13], 4, v[18:19]
	v_pk_add_f32 v[38:39], v[52:53], v[38:39]
	v_pk_mul_f32 v[40:41], v[20:21], s[28:29]
	s_mov_b32 s37, 0x3f6f5d39
	global_store_dwordx2 v[50:51], v[38:39], off
	v_pk_mul_f32 v[42:43], v[22:23], s[20:21]
	s_mov_b32 s38, s37
	s_mov_b32 s39, s2
	v_pk_fma_f32 v[50:51], v[10:11], s[24:25], v[40:41]
	v_pk_fma_f32 v[38:39], v[10:11], s[24:25], v[40:41] neg_lo:[1,0,0] neg_hi:[1,0,0]
	s_mov_b32 s36, s2
	v_pk_mul_f32 v[44:45], v[24:25], s[38:39]
	v_mov_b32_e32 v38, v50
	v_pk_fma_f32 v[52:53], v[2:3], s[8:9], v[42:43]
	v_pk_fma_f32 v[54:55], v[2:3], s[8:9], v[42:43] neg_lo:[1,0,0] neg_hi:[1,0,0]
	v_pk_fma_f32 v[56:57], v[4:5], s[36:37], v[44:45]
	v_mov_b32_e32 v54, v52
	v_pk_fma_f32 v[58:59], v[4:5], s[36:37], v[44:45] neg_lo:[1,0,0] neg_hi:[1,0,0]
	v_pk_add_f32 v[38:39], v[38:39], v[0:1]
	v_pk_mul_f32 v[48:49], v[26:27], s[26:27]
	v_mov_b32_e32 v58, v56
	v_pk_add_f32 v[38:39], v[54:55], v[38:39]
	v_pk_fma_f32 v[54:55], v[6:7], s[0:1], v[48:49]
	v_pk_add_f32 v[38:39], v[58:59], v[38:39]
	v_pk_fma_f32 v[58:59], v[6:7], s[0:1], v[48:49] neg_lo:[1,0,0] neg_hi:[1,0,0]
	v_pk_fma_f32 v[40:41], v[10:11], s[24:25], v[40:41] neg_lo:[0,0,1] neg_hi:[0,0,1]
	v_mov_b32_e32 v58, v54
	v_pk_fma_f32 v[64:65], v[12:13], s[0:1], v[60:61] neg_lo:[1,0,0] neg_hi:[1,0,0]
	v_pk_add_f32 v[38:39], v[58:59], v[38:39]
	v_pk_mul_f32 v[58:59], v[28:29], s[18:19]
	v_mov_b32_e32 v41, v51
	v_pk_fma_f32 v[42:43], v[2:3], s[8:9], v[42:43] neg_lo:[0,0,1] neg_hi:[0,0,1]
	v_mov_b32_e32 v64, v62
	v_pk_fma_f32 v[60:61], v[8:9], s[6:7], v[58:59]
	v_pk_fma_f32 v[62:63], v[8:9], s[6:7], v[58:59] neg_lo:[1,0,0] neg_hi:[1,0,0]
	v_mov_b32_e32 v43, v53
	v_pk_fma_f32 v[44:45], v[4:5], s[36:37], v[44:45] neg_lo:[0,0,1] neg_hi:[0,0,1]
	v_pk_add_f32 v[40:41], v[40:41], v[0:1]
	v_mov_b32_e32 v62, v60
	v_mov_b32_e32 v45, v57
	v_pk_fma_f32 v[48:49], v[6:7], s[0:1], v[48:49] neg_lo:[0,0,1] neg_hi:[0,0,1]
	v_pk_add_f32 v[40:41], v[42:43], v[40:41]
	v_pk_add_f32 v[38:39], v[62:63], v[38:39]
	v_pk_mul_f32 v[62:63], v[30:31], s[16:17]
	v_mov_b32_e32 v49, v55
	v_pk_fma_f32 v[50:51], v[8:9], s[6:7], v[58:59] neg_lo:[0,0,1] neg_hi:[0,0,1]
	v_pk_add_f32 v[40:41], v[44:45], v[40:41]
	v_pk_add_f32 v[36:37], v[64:65], v[36:37]
	v_pk_fma_f32 v[64:65], v[12:13], s[4:5], v[62:63]
	v_mov_b32_e32 v51, v61
	v_pk_fma_f32 v[52:53], v[12:13], s[4:5], v[62:63] neg_lo:[0,0,1] neg_hi:[0,0,1]
	v_pk_add_f32 v[40:41], v[48:49], v[40:41]
	v_mov_b32_e32 v53, v65
	v_pk_add_f32 v[40:41], v[50:51], v[40:41]
	v_pk_mul_f32 v[42:43], v[22:23], s[34:35]
	v_pk_add_f32 v[40:41], v[52:53], v[40:41]
	global_store_dwordx2 v[46:47], v[40:41], off
	v_pk_mul_f32 v[40:41], v[20:21], s[10:11]
	v_pk_mul_f32 v[44:45], v[24:25], s[26:27]
	v_pk_fma_f32 v[48:49], v[10:11], s[2:3], v[40:41]
	v_pk_fma_f32 v[50:51], v[10:11], s[2:3], v[40:41] neg_lo:[1,0,0] neg_hi:[1,0,0]
	v_pk_fma_f32 v[52:53], v[2:3], s[30:31], v[42:43]
	v_mov_b32_e32 v50, v48
	v_pk_fma_f32 v[54:55], v[2:3], s[30:31], v[42:43] neg_lo:[1,0,0] neg_hi:[1,0,0]
	v_pk_fma_f32 v[56:57], v[4:5], s[0:1], v[44:45]
	v_mov_b32_e32 v54, v52
	v_pk_fma_f32 v[58:59], v[4:5], s[0:1], v[44:45] neg_lo:[1,0,0] neg_hi:[1,0,0]
	v_pk_add_f32 v[50:51], v[50:51], v[0:1]
	v_pk_mul_f32 v[46:47], v[26:27], s[28:29]
	v_mov_b32_e32 v58, v56
	v_pk_add_f32 v[50:51], v[54:55], v[50:51]
	s_mov_b32 s35, 0x3e750f2a
	v_pk_fma_f32 v[54:55], v[6:7], s[24:25], v[46:47]
	v_pk_add_f32 v[50:51], v[58:59], v[50:51]
	v_pk_fma_f32 v[58:59], v[6:7], s[24:25], v[46:47] neg_lo:[1,0,0] neg_hi:[1,0,0]
	s_mov_b32 s38, s35
	s_mov_b32 s39, s8
	v_mov_b32_e32 v58, v54
	v_pk_fma_f32 v[40:41], v[10:11], s[2:3], v[40:41] neg_lo:[0,0,1] neg_hi:[0,0,1]
	s_mov_b32 s34, s8
	v_pk_add_f32 v[50:51], v[58:59], v[50:51]
	v_pk_mul_f32 v[58:59], v[28:29], s[38:39]
	v_mov_b32_e32 v41, v49
	v_pk_fma_f32 v[42:43], v[2:3], s[30:31], v[42:43] neg_lo:[0,0,1] neg_hi:[0,0,1]
	v_pk_fma_f32 v[66:67], v[12:13], s[4:5], v[62:63] neg_lo:[1,0,0] neg_hi:[1,0,0]
	v_pk_fma_f32 v[60:61], v[8:9], s[34:35], v[58:59]
	v_pk_fma_f32 v[62:63], v[8:9], s[34:35], v[58:59] neg_lo:[1,0,0] neg_hi:[1,0,0]
	s_mov_b32 s29, 0x3f52af12
	v_mov_b32_e32 v43, v53
	v_pk_fma_f32 v[44:45], v[4:5], s[0:1], v[44:45] neg_lo:[0,0,1] neg_hi:[0,0,1]
	v_pk_add_f32 v[40:41], v[40:41], v[0:1]
	v_mov_b32_e32 v62, v60
	s_mov_b32 s36, s29
	s_mov_b32 s37, s6
	v_mov_b32_e32 v45, v57
	v_pk_fma_f32 v[46:47], v[6:7], s[24:25], v[46:47] neg_lo:[0,0,1] neg_hi:[0,0,1]
	v_pk_add_f32 v[40:41], v[42:43], v[40:41]
	v_pk_add_f32 v[50:51], v[62:63], v[50:51]
	s_mov_b32 s28, s6
	v_pk_mul_f32 v[62:63], v[30:31], s[36:37]
	v_mov_b32_e32 v47, v55
	v_pk_fma_f32 v[52:53], v[8:9], s[34:35], v[58:59] neg_lo:[0,0,1] neg_hi:[0,0,1]
	v_pk_add_f32 v[40:41], v[44:45], v[40:41]
	v_mov_b32_e32 v66, v64
	v_pk_fma_f32 v[64:65], v[12:13], s[28:29], v[62:63]
	v_mov_b32_e32 v53, v61
	v_pk_fma_f32 v[54:55], v[12:13], s[28:29], v[62:63] neg_lo:[0,0,1] neg_hi:[0,0,1]
	v_pk_add_f32 v[40:41], v[46:47], v[40:41]
	s_lshl_b64 s[30:31], s[12:13], 5
	v_mov_b32_e32 v55, v65
	v_pk_add_f32 v[40:41], v[52:53], v[40:41]
	v_lshl_add_u64 v[48:49], v[18:19], 0, s[30:31]
	v_pk_add_f32 v[40:41], v[54:55], v[40:41]
	global_store_dwordx2 v[48:49], v[40:41], off
	v_pk_mul_f32 v[40:41], v[20:21], s[16:17]
	v_pk_mul_f32 v[42:43], v[22:23], s[22:23]
	v_pk_fma_f32 v[48:49], v[10:11], s[4:5], v[40:41]
	v_pk_fma_f32 v[52:53], v[10:11], s[4:5], v[40:41] neg_lo:[1,0,0] neg_hi:[1,0,0]
	v_pk_fma_f32 v[54:55], v[2:3], s[14:15], v[42:43]
	v_mov_b32_e32 v52, v48
	v_pk_fma_f32 v[56:57], v[2:3], s[14:15], v[42:43] neg_lo:[1,0,0] neg_hi:[1,0,0]
	v_pk_mul_f32 v[44:45], v[24:25], s[18:19]
	v_mov_b32_e32 v56, v54
	v_pk_add_f32 v[52:53], v[52:53], v[0:1]
	v_pk_fma_f32 v[58:59], v[4:5], s[6:7], v[44:45]
	v_pk_add_f32 v[52:53], v[56:57], v[52:53]
	v_pk_fma_f32 v[56:57], v[4:5], s[6:7], v[44:45] neg_lo:[1,0,0] neg_hi:[1,0,0]
	v_pk_mul_f32 v[46:47], v[26:27], s[38:39]
	v_mov_b32_e32 v56, v58
	v_pk_add_f32 v[52:53], v[56:57], v[52:53]
	v_pk_fma_f32 v[56:57], v[6:7], s[34:35], v[46:47]
	v_pk_fma_f32 v[60:61], v[6:7], s[34:35], v[46:47] neg_lo:[1,0,0] neg_hi:[1,0,0]
	v_pk_fma_f32 v[40:41], v[10:11], s[4:5], v[40:41] neg_lo:[0,0,1] neg_hi:[0,0,1]
	v_mov_b32_e32 v60, v56
	v_pk_add_f32 v[38:39], v[66:67], v[38:39]
	v_pk_fma_f32 v[66:67], v[12:13], s[28:29], v[62:63] neg_lo:[1,0,0] neg_hi:[1,0,0]
	v_pk_add_f32 v[52:53], v[60:61], v[52:53]
	v_pk_mul_f32 v[60:61], v[28:29], s[26:27]
	v_mov_b32_e32 v41, v49
	v_pk_fma_f32 v[42:43], v[2:3], s[14:15], v[42:43] neg_lo:[0,0,1] neg_hi:[0,0,1]
	v_mov_b32_e32 v66, v64
	v_pk_fma_f32 v[62:63], v[8:9], s[0:1], v[60:61]
	v_pk_fma_f32 v[64:65], v[8:9], s[0:1], v[60:61] neg_lo:[1,0,0] neg_hi:[1,0,0]
	v_mov_b32_e32 v43, v55
	v_pk_fma_f32 v[44:45], v[4:5], s[6:7], v[44:45] neg_lo:[0,0,1] neg_hi:[0,0,1]
	v_pk_add_f32 v[40:41], v[40:41], v[0:1]
	v_mov_b32_e32 v64, v62
	v_mov_b32_e32 v45, v59
	v_pk_fma_f32 v[46:47], v[6:7], s[34:35], v[46:47] neg_lo:[0,0,1] neg_hi:[0,0,1]
	v_pk_add_f32 v[40:41], v[42:43], v[40:41]
	v_pk_add_f32 v[52:53], v[64:65], v[52:53]
	v_pk_mul_f32 v[64:65], v[30:31], s[10:11]
	v_mov_b32_e32 v47, v57
	v_pk_fma_f32 v[48:49], v[8:9], s[0:1], v[60:61] neg_lo:[0,0,1] neg_hi:[0,0,1]
	v_pk_add_f32 v[40:41], v[44:45], v[40:41]
	v_pk_add_f32 v[50:51], v[66:67], v[50:51]
	v_pk_fma_f32 v[66:67], v[12:13], s[2:3], v[64:65]
	v_mov_b32_e32 v49, v63
	v_pk_fma_f32 v[56:57], v[12:13], s[2:3], v[64:65] neg_lo:[0,0,1] neg_hi:[0,0,1]
	v_pk_add_f32 v[40:41], v[46:47], v[40:41]
	v_mov_b32_e32 v57, v67
	v_pk_add_f32 v[40:41], v[48:49], v[40:41]
	v_pk_mul_f32 v[20:21], v[20:21], s[20:21]
	v_pk_add_f32 v[40:41], v[56:57], v[40:41]
	global_store_dwordx2 v[32:33], v[40:41], off
	v_pk_mul_f32 v[22:23], v[22:23], s[26:27]
	v_pk_fma_f32 v[32:33], v[10:11], s[8:9], v[20:21]
	v_pk_fma_f32 v[40:41], v[10:11], s[8:9], v[20:21] neg_lo:[1,0,0] neg_hi:[1,0,0]
	v_pk_mul_f32 v[24:25], v[24:25], s[16:17]
	v_mov_b32_e32 v40, v32
	v_pk_fma_f32 v[42:43], v[2:3], s[0:1], v[22:23]
	v_pk_fma_f32 v[44:45], v[2:3], s[0:1], v[22:23] neg_lo:[1,0,0] neg_hi:[1,0,0]
	v_pk_mul_f32 v[26:27], v[26:27], s[36:37]
	v_mov_b32_e32 v44, v42
	v_pk_fma_f32 v[46:47], v[4:5], s[4:5], v[24:25]
	v_pk_fma_f32 v[48:49], v[4:5], s[4:5], v[24:25] neg_lo:[1,0,0] neg_hi:[1,0,0]
	v_pk_add_f32 v[40:41], v[40:41], v[0:1]
	v_pk_mul_f32 v[28:29], v[28:29], s[10:11]
	v_mov_b32_e32 v48, v46
	v_pk_fma_f32 v[56:57], v[6:7], s[28:29], v[26:27]
	v_pk_fma_f32 v[58:59], v[6:7], s[28:29], v[26:27] neg_lo:[1,0,0] neg_hi:[1,0,0]
	v_pk_add_f32 v[40:41], v[44:45], v[40:41]
	v_mov_b32_e32 v58, v56
	v_pk_fma_f32 v[44:45], v[8:9], s[2:3], v[28:29]
	v_pk_add_f32 v[40:41], v[48:49], v[40:41]
	v_pk_fma_f32 v[48:49], v[8:9], s[2:3], v[28:29] neg_lo:[1,0,0] neg_hi:[1,0,0]
	v_pk_fma_f32 v[10:11], v[10:11], s[8:9], v[20:21] neg_lo:[0,0,1] neg_hi:[0,0,1]
	v_pk_mul_f32 v[30:31], v[30:31], s[22:23]
	v_mov_b32_e32 v48, v44
	v_pk_add_f32 v[40:41], v[58:59], v[40:41]
	v_mov_b32_e32 v11, 0x58
	v_pk_fma_f32 v[86:87], v[12:13], s[8:9], v[82:83] neg_lo:[1,0,0] neg_hi:[1,0,0]
	v_pk_fma_f32 v[58:59], v[12:13], s[14:15], v[30:31]
	v_pk_add_f32 v[40:41], v[48:49], v[40:41]
	v_pk_fma_f32 v[48:49], v[12:13], s[14:15], v[30:31] neg_lo:[1,0,0] neg_hi:[1,0,0]
	v_mad_u64_u32 v[20:21], s[8:9], s12, v11, v[18:19]
	v_mov_b32_e32 v11, v33
	v_pk_fma_f32 v[2:3], v[2:3], s[0:1], v[22:23] neg_lo:[0,0,1] neg_hi:[0,0,1]
	v_mov_b32_e32 v48, v58
	v_mov_b32_e32 v32, 0x50
	v_mov_b32_e32 v3, v43
	v_pk_fma_f32 v[4:5], v[4:5], s[4:5], v[24:25] neg_lo:[0,0,1] neg_hi:[0,0,1]
	v_pk_add_f32 v[0:1], v[10:11], v[0:1]
	s_lshl_b64 s[6:7], s[12:13], 6
	v_mov_b32_e32 v54, 0x48
	v_pk_add_f32 v[40:41], v[48:49], v[40:41]
	v_mad_u64_u32 v[48:49], s[10:11], s12, v32, v[18:19]
	v_mov_b32_e32 v32, 0x60
	v_mov_b32_e32 v5, v47
	v_pk_fma_f32 v[6:7], v[6:7], s[28:29], v[26:27] neg_lo:[0,0,1] neg_hi:[0,0,1]
	v_pk_add_f32 v[0:1], v[2:3], v[0:1]
	v_mad_u64_u32 v[54:55], s[18:19], s12, v54, v[18:19]
	v_mad_u64_u32 v[32:33], s[8:9], s12, v32, v[18:19]
	v_lshl_add_u64 v[18:19], v[18:19], 0, s[6:7]
	s_mul_i32 s6, s13, 0x48
	v_mov_b32_e32 v7, v57
	v_pk_fma_f32 v[8:9], v[8:9], s[2:3], v[28:29] neg_lo:[0,0,1] neg_hi:[0,0,1]
	v_pk_add_f32 v[0:1], v[4:5], v[0:1]
	v_pk_fma_f32 v[68:69], v[12:13], s[2:3], v[64:65] neg_lo:[1,0,0] neg_hi:[1,0,0]
	v_add_u32_e32 v55, s6, v55
	s_mul_i32 s6, s13, 0x50
	v_mov_b32_e32 v9, v45
	v_pk_fma_f32 v[12:13], v[12:13], s[14:15], v[30:31] neg_lo:[0,0,1] neg_hi:[0,0,1]
	v_pk_add_f32 v[0:1], v[6:7], v[0:1]
	v_add_u32_e32 v49, s6, v49
	s_mul_i32 s6, s13, 0x58
	v_mov_b32_e32 v13, v59
	v_pk_add_f32 v[0:1], v[8:9], v[0:1]
	v_mov_b32_e32 v86, v84
	v_mov_b32_e32 v68, v66
	v_add_u32_e32 v21, s6, v21
	s_mul_i32 s6, s13, 0x60
	v_pk_add_f32 v[0:1], v[12:13], v[0:1]
	v_pk_add_f32 v[34:35], v[86:87], v[34:35]
	;; [unrolled: 1-line block ×3, first 2 shown]
	v_add_u32_e32 v33, s6, v33
	global_store_dwordx2 v[14:15], v[0:1], off
	global_store_dwordx2 v[16:17], v[40:41], off
	;; [unrolled: 1-line block ×7, first 2 shown]
	s_endpgm
	.section	.rodata,"a",@progbits
	.p2align	6, 0x0
	.amdhsa_kernel fft_rtc_fwd_len13_factors_13_wgs_64_tpt_1_sp_op_CI_CI_sbrr_dirReg
		.amdhsa_group_segment_fixed_size 0
		.amdhsa_private_segment_fixed_size 0
		.amdhsa_kernarg_size 104
		.amdhsa_user_sgpr_count 2
		.amdhsa_user_sgpr_dispatch_ptr 0
		.amdhsa_user_sgpr_queue_ptr 0
		.amdhsa_user_sgpr_kernarg_segment_ptr 1
		.amdhsa_user_sgpr_dispatch_id 0
		.amdhsa_user_sgpr_kernarg_preload_length 0
		.amdhsa_user_sgpr_kernarg_preload_offset 0
		.amdhsa_user_sgpr_private_segment_size 0
		.amdhsa_uses_dynamic_stack 0
		.amdhsa_enable_private_segment 0
		.amdhsa_system_sgpr_workgroup_id_x 1
		.amdhsa_system_sgpr_workgroup_id_y 0
		.amdhsa_system_sgpr_workgroup_id_z 0
		.amdhsa_system_sgpr_workgroup_info 0
		.amdhsa_system_vgpr_workitem_id 0
		.amdhsa_next_free_vgpr 88
		.amdhsa_next_free_sgpr 40
		.amdhsa_accum_offset 88
		.amdhsa_reserve_vcc 1
		.amdhsa_float_round_mode_32 0
		.amdhsa_float_round_mode_16_64 0
		.amdhsa_float_denorm_mode_32 3
		.amdhsa_float_denorm_mode_16_64 3
		.amdhsa_dx10_clamp 1
		.amdhsa_ieee_mode 1
		.amdhsa_fp16_overflow 0
		.amdhsa_tg_split 0
		.amdhsa_exception_fp_ieee_invalid_op 0
		.amdhsa_exception_fp_denorm_src 0
		.amdhsa_exception_fp_ieee_div_zero 0
		.amdhsa_exception_fp_ieee_overflow 0
		.amdhsa_exception_fp_ieee_underflow 0
		.amdhsa_exception_fp_ieee_inexact 0
		.amdhsa_exception_int_div_zero 0
	.end_amdhsa_kernel
	.text
.Lfunc_end0:
	.size	fft_rtc_fwd_len13_factors_13_wgs_64_tpt_1_sp_op_CI_CI_sbrr_dirReg, .Lfunc_end0-fft_rtc_fwd_len13_factors_13_wgs_64_tpt_1_sp_op_CI_CI_sbrr_dirReg
                                        ; -- End function
	.section	.AMDGPU.csdata,"",@progbits
; Kernel info:
; codeLenInByte = 4608
; NumSgprs: 46
; NumVgprs: 88
; NumAgprs: 0
; TotalNumVgprs: 88
; ScratchSize: 0
; MemoryBound: 0
; FloatMode: 240
; IeeeMode: 1
; LDSByteSize: 0 bytes/workgroup (compile time only)
; SGPRBlocks: 5
; VGPRBlocks: 10
; NumSGPRsForWavesPerEU: 46
; NumVGPRsForWavesPerEU: 88
; AccumOffset: 88
; Occupancy: 5
; WaveLimiterHint : 1
; COMPUTE_PGM_RSRC2:SCRATCH_EN: 0
; COMPUTE_PGM_RSRC2:USER_SGPR: 2
; COMPUTE_PGM_RSRC2:TRAP_HANDLER: 0
; COMPUTE_PGM_RSRC2:TGID_X_EN: 1
; COMPUTE_PGM_RSRC2:TGID_Y_EN: 0
; COMPUTE_PGM_RSRC2:TGID_Z_EN: 0
; COMPUTE_PGM_RSRC2:TIDIG_COMP_CNT: 0
; COMPUTE_PGM_RSRC3_GFX90A:ACCUM_OFFSET: 21
; COMPUTE_PGM_RSRC3_GFX90A:TG_SPLIT: 0
	.text
	.p2alignl 6, 3212836864
	.fill 256, 4, 3212836864
	.type	__hip_cuid_82cfd993f051c31,@object ; @__hip_cuid_82cfd993f051c31
	.section	.bss,"aw",@nobits
	.globl	__hip_cuid_82cfd993f051c31
__hip_cuid_82cfd993f051c31:
	.byte	0                               ; 0x0
	.size	__hip_cuid_82cfd993f051c31, 1

	.ident	"AMD clang version 19.0.0git (https://github.com/RadeonOpenCompute/llvm-project roc-6.4.0 25133 c7fe45cf4b819c5991fe208aaa96edf142730f1d)"
	.section	".note.GNU-stack","",@progbits
	.addrsig
	.addrsig_sym __hip_cuid_82cfd993f051c31
	.amdgpu_metadata
---
amdhsa.kernels:
  - .agpr_count:     0
    .args:
      - .actual_access:  read_only
        .address_space:  global
        .offset:         0
        .size:           8
        .value_kind:     global_buffer
      - .offset:         8
        .size:           8
        .value_kind:     by_value
      - .actual_access:  read_only
        .address_space:  global
        .offset:         16
        .size:           8
        .value_kind:     global_buffer
      - .actual_access:  read_only
        .address_space:  global
        .offset:         24
        .size:           8
        .value_kind:     global_buffer
      - .actual_access:  read_only
        .address_space:  global
        .offset:         32
        .size:           8
        .value_kind:     global_buffer
      - .offset:         40
        .size:           8
        .value_kind:     by_value
      - .actual_access:  read_only
        .address_space:  global
        .offset:         48
        .size:           8
        .value_kind:     global_buffer
      - .actual_access:  read_only
        .address_space:  global
        .offset:         56
        .size:           8
        .value_kind:     global_buffer
      - .offset:         64
        .size:           4
        .value_kind:     by_value
      - .actual_access:  read_only
        .address_space:  global
        .offset:         72
        .size:           8
        .value_kind:     global_buffer
      - .actual_access:  read_only
        .address_space:  global
        .offset:         80
        .size:           8
        .value_kind:     global_buffer
      - .actual_access:  read_only
        .address_space:  global
        .offset:         88
        .size:           8
        .value_kind:     global_buffer
      - .actual_access:  write_only
        .address_space:  global
        .offset:         96
        .size:           8
        .value_kind:     global_buffer
    .group_segment_fixed_size: 0
    .kernarg_segment_align: 8
    .kernarg_segment_size: 104
    .language:       OpenCL C
    .language_version:
      - 2
      - 0
    .max_flat_workgroup_size: 64
    .name:           fft_rtc_fwd_len13_factors_13_wgs_64_tpt_1_sp_op_CI_CI_sbrr_dirReg
    .private_segment_fixed_size: 0
    .sgpr_count:     46
    .sgpr_spill_count: 0
    .symbol:         fft_rtc_fwd_len13_factors_13_wgs_64_tpt_1_sp_op_CI_CI_sbrr_dirReg.kd
    .uniform_work_group_size: 1
    .uses_dynamic_stack: false
    .vgpr_count:     88
    .vgpr_spill_count: 0
    .wavefront_size: 64
amdhsa.target:   amdgcn-amd-amdhsa--gfx950
amdhsa.version:
  - 1
  - 2
...

	.end_amdgpu_metadata
